;; amdgpu-corpus repo=ROCm/rocFFT kind=compiled arch=gfx906 opt=O3
	.text
	.amdgcn_target "amdgcn-amd-amdhsa--gfx906"
	.amdhsa_code_object_version 6
	.protected	fft_rtc_back_len1536_factors_16_16_6_wgs_256_tpt_256_halfLds_dp_op_CI_CI_unitstride_sbrr_C2R_dirReg ; -- Begin function fft_rtc_back_len1536_factors_16_16_6_wgs_256_tpt_256_halfLds_dp_op_CI_CI_unitstride_sbrr_C2R_dirReg
	.globl	fft_rtc_back_len1536_factors_16_16_6_wgs_256_tpt_256_halfLds_dp_op_CI_CI_unitstride_sbrr_C2R_dirReg
	.p2align	8
	.type	fft_rtc_back_len1536_factors_16_16_6_wgs_256_tpt_256_halfLds_dp_op_CI_CI_unitstride_sbrr_C2R_dirReg,@function
fft_rtc_back_len1536_factors_16_16_6_wgs_256_tpt_256_halfLds_dp_op_CI_CI_unitstride_sbrr_C2R_dirReg: ; @fft_rtc_back_len1536_factors_16_16_6_wgs_256_tpt_256_halfLds_dp_op_CI_CI_unitstride_sbrr_C2R_dirReg
; %bb.0:
	s_load_dwordx4 s[12:15], s[4:5], 0x0
	s_load_dwordx4 s[8:11], s[4:5], 0x58
	;; [unrolled: 1-line block ×3, first 2 shown]
	v_mov_b32_e32 v3, 0
	v_mov_b32_e32 v1, 0
	s_waitcnt lgkmcnt(0)
	v_cmp_lt_u64_e64 s[0:1], s[14:15], 2
	v_mov_b32_e32 v5, s6
	v_mov_b32_e32 v6, v3
	s_and_b64 vcc, exec, s[0:1]
	v_mov_b32_e32 v2, 0
	s_cbranch_vccnz .LBB0_8
; %bb.1:
	s_load_dwordx2 s[0:1], s[4:5], 0x10
	s_add_u32 s2, s18, 8
	s_addc_u32 s3, s19, 0
	s_add_u32 s6, s16, 8
	v_mov_b32_e32 v1, 0
	s_addc_u32 s7, s17, 0
	v_mov_b32_e32 v2, 0
	s_waitcnt lgkmcnt(0)
	s_add_u32 s20, s0, 8
	v_mov_b32_e32 v66, v2
	s_addc_u32 s21, s1, 0
	s_mov_b64 s[22:23], 1
	v_mov_b32_e32 v65, v1
.LBB0_2:                                ; =>This Inner Loop Header: Depth=1
	s_load_dwordx2 s[24:25], s[20:21], 0x0
                                        ; implicit-def: $vgpr67_vgpr68
	s_waitcnt lgkmcnt(0)
	v_or_b32_e32 v4, s25, v6
	v_cmp_ne_u64_e32 vcc, 0, v[3:4]
	s_and_saveexec_b64 s[0:1], vcc
	s_xor_b64 s[26:27], exec, s[0:1]
	s_cbranch_execz .LBB0_4
; %bb.3:                                ;   in Loop: Header=BB0_2 Depth=1
	v_cvt_f32_u32_e32 v4, s24
	v_cvt_f32_u32_e32 v7, s25
	s_sub_u32 s0, 0, s24
	s_subb_u32 s1, 0, s25
	v_mac_f32_e32 v4, 0x4f800000, v7
	v_rcp_f32_e32 v4, v4
	v_mul_f32_e32 v4, 0x5f7ffffc, v4
	v_mul_f32_e32 v7, 0x2f800000, v4
	v_trunc_f32_e32 v7, v7
	v_mac_f32_e32 v4, 0xcf800000, v7
	v_cvt_u32_f32_e32 v7, v7
	v_cvt_u32_f32_e32 v4, v4
	v_mul_lo_u32 v8, s0, v7
	v_mul_hi_u32 v9, s0, v4
	v_mul_lo_u32 v11, s1, v4
	v_mul_lo_u32 v10, s0, v4
	v_add_u32_e32 v8, v9, v8
	v_add_u32_e32 v8, v8, v11
	v_mul_hi_u32 v9, v4, v10
	v_mul_lo_u32 v11, v4, v8
	v_mul_hi_u32 v13, v4, v8
	v_mul_hi_u32 v12, v7, v10
	v_mul_lo_u32 v10, v7, v10
	v_mul_hi_u32 v14, v7, v8
	v_add_co_u32_e32 v9, vcc, v9, v11
	v_addc_co_u32_e32 v11, vcc, 0, v13, vcc
	v_mul_lo_u32 v8, v7, v8
	v_add_co_u32_e32 v9, vcc, v9, v10
	v_addc_co_u32_e32 v9, vcc, v11, v12, vcc
	v_addc_co_u32_e32 v10, vcc, 0, v14, vcc
	v_add_co_u32_e32 v8, vcc, v9, v8
	v_addc_co_u32_e32 v9, vcc, 0, v10, vcc
	v_add_co_u32_e32 v4, vcc, v4, v8
	v_addc_co_u32_e32 v7, vcc, v7, v9, vcc
	v_mul_lo_u32 v8, s0, v7
	v_mul_hi_u32 v9, s0, v4
	v_mul_lo_u32 v10, s1, v4
	v_mul_lo_u32 v11, s0, v4
	v_add_u32_e32 v8, v9, v8
	v_add_u32_e32 v8, v8, v10
	v_mul_lo_u32 v12, v4, v8
	v_mul_hi_u32 v13, v4, v11
	v_mul_hi_u32 v14, v4, v8
	;; [unrolled: 1-line block ×3, first 2 shown]
	v_mul_lo_u32 v11, v7, v11
	v_mul_hi_u32 v9, v7, v8
	v_add_co_u32_e32 v12, vcc, v13, v12
	v_addc_co_u32_e32 v13, vcc, 0, v14, vcc
	v_mul_lo_u32 v8, v7, v8
	v_add_co_u32_e32 v11, vcc, v12, v11
	v_addc_co_u32_e32 v10, vcc, v13, v10, vcc
	v_addc_co_u32_e32 v9, vcc, 0, v9, vcc
	v_add_co_u32_e32 v8, vcc, v10, v8
	v_addc_co_u32_e32 v9, vcc, 0, v9, vcc
	v_add_co_u32_e32 v4, vcc, v4, v8
	v_addc_co_u32_e32 v9, vcc, v7, v9, vcc
	v_mad_u64_u32 v[7:8], s[0:1], v5, v9, 0
	v_mul_hi_u32 v10, v5, v4
	v_add_co_u32_e32 v11, vcc, v10, v7
	v_addc_co_u32_e32 v12, vcc, 0, v8, vcc
	v_mad_u64_u32 v[7:8], s[0:1], v6, v4, 0
	v_mad_u64_u32 v[9:10], s[0:1], v6, v9, 0
	v_add_co_u32_e32 v4, vcc, v11, v7
	v_addc_co_u32_e32 v4, vcc, v12, v8, vcc
	v_addc_co_u32_e32 v7, vcc, 0, v10, vcc
	v_add_co_u32_e32 v4, vcc, v4, v9
	v_addc_co_u32_e32 v9, vcc, 0, v7, vcc
	v_mul_lo_u32 v10, s25, v4
	v_mul_lo_u32 v11, s24, v9
	v_mad_u64_u32 v[7:8], s[0:1], s24, v4, 0
	v_add3_u32 v8, v8, v11, v10
	v_sub_u32_e32 v10, v6, v8
	v_mov_b32_e32 v11, s25
	v_sub_co_u32_e32 v7, vcc, v5, v7
	v_subb_co_u32_e64 v10, s[0:1], v10, v11, vcc
	v_subrev_co_u32_e64 v11, s[0:1], s24, v7
	v_subbrev_co_u32_e64 v10, s[0:1], 0, v10, s[0:1]
	v_cmp_le_u32_e64 s[0:1], s25, v10
	v_cndmask_b32_e64 v12, 0, -1, s[0:1]
	v_cmp_le_u32_e64 s[0:1], s24, v11
	v_cndmask_b32_e64 v11, 0, -1, s[0:1]
	v_cmp_eq_u32_e64 s[0:1], s25, v10
	v_cndmask_b32_e64 v10, v12, v11, s[0:1]
	v_add_co_u32_e64 v11, s[0:1], 2, v4
	v_addc_co_u32_e64 v12, s[0:1], 0, v9, s[0:1]
	v_add_co_u32_e64 v13, s[0:1], 1, v4
	v_addc_co_u32_e64 v14, s[0:1], 0, v9, s[0:1]
	v_subb_co_u32_e32 v8, vcc, v6, v8, vcc
	v_cmp_ne_u32_e64 s[0:1], 0, v10
	v_cmp_le_u32_e32 vcc, s25, v8
	v_cndmask_b32_e64 v10, v14, v12, s[0:1]
	v_cndmask_b32_e64 v12, 0, -1, vcc
	v_cmp_le_u32_e32 vcc, s24, v7
	v_cndmask_b32_e64 v7, 0, -1, vcc
	v_cmp_eq_u32_e32 vcc, s25, v8
	v_cndmask_b32_e32 v7, v12, v7, vcc
	v_cmp_ne_u32_e32 vcc, 0, v7
	v_cndmask_b32_e64 v7, v13, v11, s[0:1]
	v_cndmask_b32_e32 v68, v9, v10, vcc
	v_cndmask_b32_e32 v67, v4, v7, vcc
.LBB0_4:                                ;   in Loop: Header=BB0_2 Depth=1
	s_andn2_saveexec_b64 s[0:1], s[26:27]
	s_cbranch_execz .LBB0_6
; %bb.5:                                ;   in Loop: Header=BB0_2 Depth=1
	v_cvt_f32_u32_e32 v4, s24
	s_sub_i32 s26, 0, s24
	v_mov_b32_e32 v68, v3
	v_rcp_iflag_f32_e32 v4, v4
	v_mul_f32_e32 v4, 0x4f7ffffe, v4
	v_cvt_u32_f32_e32 v4, v4
	v_mul_lo_u32 v7, s26, v4
	v_mul_hi_u32 v7, v4, v7
	v_add_u32_e32 v4, v4, v7
	v_mul_hi_u32 v4, v5, v4
	v_mul_lo_u32 v7, v4, s24
	v_add_u32_e32 v8, 1, v4
	v_sub_u32_e32 v7, v5, v7
	v_subrev_u32_e32 v9, s24, v7
	v_cmp_le_u32_e32 vcc, s24, v7
	v_cndmask_b32_e32 v7, v7, v9, vcc
	v_cndmask_b32_e32 v4, v4, v8, vcc
	v_add_u32_e32 v8, 1, v4
	v_cmp_le_u32_e32 vcc, s24, v7
	v_cndmask_b32_e32 v67, v4, v8, vcc
.LBB0_6:                                ;   in Loop: Header=BB0_2 Depth=1
	s_or_b64 exec, exec, s[0:1]
	v_mul_lo_u32 v4, v68, s24
	v_mul_lo_u32 v9, v67, s25
	v_mad_u64_u32 v[7:8], s[0:1], v67, s24, 0
	s_load_dwordx2 s[0:1], s[6:7], 0x0
	s_load_dwordx2 s[24:25], s[2:3], 0x0
	v_add3_u32 v4, v8, v9, v4
	v_sub_co_u32_e32 v5, vcc, v5, v7
	v_subb_co_u32_e32 v4, vcc, v6, v4, vcc
	s_waitcnt lgkmcnt(0)
	v_mul_lo_u32 v6, s0, v4
	v_mul_lo_u32 v7, s1, v5
	v_mad_u64_u32 v[1:2], s[0:1], s0, v5, v[1:2]
	v_mul_lo_u32 v4, s24, v4
	v_mul_lo_u32 v8, s25, v5
	v_mad_u64_u32 v[65:66], s[0:1], s24, v5, v[65:66]
	s_add_u32 s22, s22, 1
	s_addc_u32 s23, s23, 0
	s_add_u32 s2, s2, 8
	v_add3_u32 v66, v8, v66, v4
	s_addc_u32 s3, s3, 0
	v_mov_b32_e32 v4, s14
	s_add_u32 s6, s6, 8
	v_mov_b32_e32 v5, s15
	s_addc_u32 s7, s7, 0
	v_cmp_ge_u64_e32 vcc, s[22:23], v[4:5]
	s_add_u32 s20, s20, 8
	v_add3_u32 v2, v7, v2, v6
	s_addc_u32 s21, s21, 0
	s_cbranch_vccnz .LBB0_9
; %bb.7:                                ;   in Loop: Header=BB0_2 Depth=1
	v_mov_b32_e32 v5, v67
	v_mov_b32_e32 v6, v68
	s_branch .LBB0_2
.LBB0_8:
	v_mov_b32_e32 v66, v2
	v_mov_b32_e32 v68, v6
	;; [unrolled: 1-line block ×4, first 2 shown]
.LBB0_9:
	s_load_dwordx2 s[4:5], s[4:5], 0x28
	s_lshl_b64 s[6:7], s[14:15], 3
	s_add_u32 s2, s18, s6
	s_addc_u32 s3, s19, s7
                                        ; implicit-def: $vgpr69
	s_waitcnt lgkmcnt(0)
	v_cmp_gt_u64_e64 s[0:1], s[4:5], v[67:68]
	v_cmp_le_u64_e32 vcc, s[4:5], v[67:68]
	s_and_saveexec_b64 s[4:5], vcc
	s_xor_b64 s[4:5], exec, s[4:5]
; %bb.10:
	v_mov_b32_e32 v69, v0
                                        ; implicit-def: $vgpr1_vgpr2
; %bb.11:
	s_or_saveexec_b64 s[4:5], s[4:5]
	s_load_dwordx2 s[2:3], s[2:3], 0x0
	v_lshlrev_b32_e32 v72, 4, v0
	s_xor_b64 exec, exec, s[4:5]
	s_cbranch_execz .LBB0_15
; %bb.12:
	s_add_u32 s6, s16, s6
	s_addc_u32 s7, s17, s7
	s_load_dwordx2 s[6:7], s[6:7], 0x0
	v_lshlrev_b64 v[5:6], 4, v[1:2]
	v_mov_b32_e32 v9, s9
	v_or_b32_e32 v35, 0x3000, v72
	v_mov_b32_e32 v69, v0
	s_waitcnt lgkmcnt(0)
	v_mul_lo_u32 v7, s7, v67
	v_mul_lo_u32 v8, s6, v68
	v_mad_u64_u32 v[3:4], s[6:7], s6, v67, 0
	s_movk_i32 s6, 0xff
	v_add3_u32 v4, v4, v8, v7
	v_lshlrev_b64 v[1:2], 4, v[3:4]
	v_add_co_u32_e32 v1, vcc, s8, v1
	v_addc_co_u32_e32 v3, vcc, v9, v2, vcc
	v_add_co_u32_e32 v2, vcc, v1, v5
	v_addc_co_u32_e32 v1, vcc, v3, v6, vcc
	;; [unrolled: 2-line block ×3, first 2 shown]
	v_or_b32_e32 v3, 0x1000, v72
	v_add_co_u32_e32 v13, vcc, v2, v3
	v_addc_co_u32_e32 v14, vcc, 0, v1, vcc
	global_load_dwordx4 v[3:6], v[11:12], off
	global_load_dwordx4 v[7:10], v[13:14], off
	v_or_b32_e32 v11, 0x2000, v72
	v_add_co_u32_e32 v27, vcc, v2, v11
	v_addc_co_u32_e32 v28, vcc, 0, v1, vcc
	v_add_co_u32_e32 v29, vcc, v2, v35
	v_or_b32_e32 v11, 0x4000, v72
	v_addc_co_u32_e32 v30, vcc, 0, v1, vcc
	v_add_co_u32_e32 v31, vcc, v2, v11
	v_or_b32_e32 v12, 0x5000, v72
	v_addc_co_u32_e32 v32, vcc, 0, v1, vcc
	v_add_co_u32_e32 v33, vcc, v2, v12
	v_addc_co_u32_e32 v34, vcc, 0, v1, vcc
	global_load_dwordx4 v[11:14], v[27:28], off
	global_load_dwordx4 v[15:18], v[29:30], off
	;; [unrolled: 1-line block ×4, first 2 shown]
	v_add_u32_e32 v27, 0, v72
	v_cmp_eq_u32_e32 vcc, s6, v0
	v_add_u32_e32 v28, 0, v35
	s_waitcnt vmcnt(5)
	ds_write_b128 v27, v[3:6]
	s_waitcnt vmcnt(4)
	ds_write_b128 v27, v[7:10] offset:4096
	s_waitcnt vmcnt(3)
	ds_write_b128 v27, v[11:14] offset:8192
	s_waitcnt vmcnt(2)
	ds_write_b128 v28, v[15:18]
	s_waitcnt vmcnt(1)
	ds_write_b128 v27, v[19:22] offset:16384
	s_waitcnt vmcnt(0)
	ds_write_b128 v27, v[23:26] offset:20480
	s_and_saveexec_b64 s[6:7], vcc
	s_cbranch_execz .LBB0_14
; %bb.13:
	v_add_co_u32_e32 v2, vcc, 0x6000, v2
	v_addc_co_u32_e32 v3, vcc, 0, v1, vcc
	global_load_dwordx4 v[1:4], v[2:3], off
	v_mov_b32_e32 v5, 0
	v_mov_b32_e32 v69, 0xff
	s_waitcnt vmcnt(0)
	ds_write_b128 v5, v[1:4] offset:24576
.LBB0_14:
	s_or_b64 exec, exec, s[6:7]
.LBB0_15:
	s_or_b64 exec, exec, s[4:5]
	v_lshlrev_b32_e32 v1, 4, v69
	v_add_u32_e32 v71, 0, v1
	s_waitcnt lgkmcnt(0)
	s_barrier
	v_sub_u32_e32 v9, 0, v1
	ds_read_b64 v[5:6], v71
	ds_read_b64 v[7:8], v9 offset:24576
	s_add_u32 s6, s12, 0x5f00
	s_addc_u32 s7, s13, 0
	v_cmp_ne_u32_e32 vcc, 0, v69
	s_waitcnt lgkmcnt(0)
	v_add_f64 v[1:2], v[5:6], v[7:8]
	v_add_f64 v[3:4], v[5:6], -v[7:8]
	s_and_saveexec_b64 s[4:5], vcc
	s_xor_b64 s[4:5], exec, s[4:5]
	s_cbranch_execz .LBB0_17
; %bb.16:
	v_mov_b32_e32 v70, 0
	v_lshlrev_b64 v[1:2], 4, v[69:70]
	v_mov_b32_e32 v3, s7
	v_add_co_u32_e32 v1, vcc, s6, v1
	v_addc_co_u32_e32 v2, vcc, v3, v2, vcc
	global_load_dwordx4 v[10:13], v[1:2], off
	ds_read_b64 v[1:2], v9 offset:24584
	ds_read_b64 v[3:4], v71 offset:8
	v_add_f64 v[14:15], v[5:6], v[7:8]
	v_add_f64 v[16:17], v[5:6], -v[7:8]
	s_waitcnt lgkmcnt(0)
	v_add_f64 v[18:19], v[1:2], v[3:4]
	v_add_f64 v[1:2], v[3:4], -v[1:2]
	s_waitcnt vmcnt(0)
	v_fma_f64 v[3:4], -v[16:17], v[12:13], v[14:15]
	v_fma_f64 v[7:8], v[18:19], v[12:13], -v[1:2]
	v_fma_f64 v[14:15], v[16:17], v[12:13], v[14:15]
	v_fma_f64 v[12:13], v[18:19], v[12:13], v[1:2]
	;; [unrolled: 1-line block ×4, first 2 shown]
	v_fma_f64 v[1:2], -v[18:19], v[10:11], v[14:15]
	v_fma_f64 v[3:4], v[16:17], v[10:11], v[12:13]
	ds_write_b128 v9, v[5:8] offset:24576
.LBB0_17:
	s_andn2_saveexec_b64 s[4:5], s[4:5]
	s_cbranch_execz .LBB0_19
; %bb.18:
	v_mov_b32_e32 v10, 0
	ds_read_b128 v[5:8], v10 offset:12288
	s_waitcnt lgkmcnt(0)
	v_add_f64 v[5:6], v[5:6], v[5:6]
	v_mul_f64 v[7:8], v[7:8], -2.0
	ds_write_b128 v10, v[5:8] offset:12288
.LBB0_19:
	s_or_b64 exec, exec, s[4:5]
	v_or_b32_e32 v10, 0x100, v69
	v_mov_b32_e32 v11, 0
	v_lshlrev_b64 v[5:6], 4, v[10:11]
	v_mov_b32_e32 v7, s7
	v_add_co_u32_e32 v5, vcc, s6, v5
	v_addc_co_u32_e32 v6, vcc, v7, v6, vcc
	global_load_dwordx4 v[5:8], v[5:6], off
	v_or_b32_e32 v10, 0x200, v69
	v_lshlrev_b64 v[10:11], 4, v[10:11]
	v_mov_b32_e32 v12, s7
	v_add_co_u32_e32 v10, vcc, s6, v10
	v_addc_co_u32_e32 v11, vcc, v12, v11, vcc
	global_load_dwordx4 v[10:13], v[10:11], off
	ds_write_b128 v71, v[1:4]
	ds_read_b128 v[1:4], v71 offset:4096
	ds_read_b128 v[14:17], v9 offset:20480
	s_mov_b32 s4, 0x667f3bcd
	s_mov_b32 s5, 0xbfe6a09e
	;; [unrolled: 1-line block ×4, first 2 shown]
	s_waitcnt lgkmcnt(0)
	v_add_f64 v[18:19], v[1:2], v[14:15]
	v_add_f64 v[20:21], v[16:17], v[3:4]
	v_add_f64 v[22:23], v[1:2], -v[14:15]
	v_add_f64 v[1:2], v[3:4], -v[16:17]
	s_mov_b32 s8, 0xcf328d46
	s_mov_b32 s14, 0xa6aea964
	;; [unrolled: 1-line block ×8, first 2 shown]
	s_waitcnt vmcnt(1)
	v_fma_f64 v[3:4], v[22:23], v[7:8], v[18:19]
	v_fma_f64 v[14:15], v[20:21], v[7:8], v[1:2]
	v_fma_f64 v[16:17], -v[22:23], v[7:8], v[18:19]
	v_fma_f64 v[7:8], v[20:21], v[7:8], -v[1:2]
	v_fma_f64 v[1:2], -v[20:21], v[5:6], v[3:4]
	v_fma_f64 v[3:4], v[22:23], v[5:6], v[14:15]
	v_fma_f64 v[14:15], v[20:21], v[5:6], v[16:17]
	;; [unrolled: 1-line block ×3, first 2 shown]
	ds_write_b128 v71, v[1:4] offset:4096
	ds_write_b128 v9, v[14:17] offset:20480
	ds_read_b128 v[1:4], v71 offset:8192
	ds_read_b128 v[5:8], v9 offset:16384
	s_waitcnt lgkmcnt(0)
	v_add_f64 v[14:15], v[1:2], v[5:6]
	v_add_f64 v[16:17], v[7:8], v[3:4]
	v_add_f64 v[18:19], v[1:2], -v[5:6]
	v_add_f64 v[1:2], v[3:4], -v[7:8]
	s_waitcnt vmcnt(0)
	v_fma_f64 v[3:4], v[18:19], v[12:13], v[14:15]
	v_fma_f64 v[5:6], v[16:17], v[12:13], v[1:2]
	v_fma_f64 v[7:8], -v[18:19], v[12:13], v[14:15]
	v_fma_f64 v[12:13], v[16:17], v[12:13], -v[1:2]
	v_fma_f64 v[1:2], -v[16:17], v[10:11], v[3:4]
	v_fma_f64 v[3:4], v[18:19], v[10:11], v[5:6]
	v_fma_f64 v[5:6], v[16:17], v[10:11], v[7:8]
	;; [unrolled: 1-line block ×3, first 2 shown]
	ds_write_b128 v71, v[1:4] offset:8192
	ds_write_b128 v9, v[5:8] offset:16384
	s_waitcnt lgkmcnt(0)
	s_barrier
	s_barrier
	ds_read_b128 v[1:4], v71
	ds_read_b128 v[5:8], v71 offset:1536
	ds_read_b128 v[9:12], v71 offset:3072
	;; [unrolled: 1-line block ×15, first 2 shown]
	s_waitcnt lgkmcnt(7)
	v_add_f64 v[33:34], v[1:2], -v[33:34]
	v_add_f64 v[35:36], v[3:4], -v[35:36]
	s_waitcnt lgkmcnt(3)
	v_add_f64 v[49:50], v[17:18], -v[49:50]
	v_add_f64 v[51:52], v[19:20], -v[51:52]
	;; [unrolled: 1-line block ×4, first 2 shown]
	s_waitcnt lgkmcnt(1)
	v_add_f64 v[57:58], v[25:26], -v[57:58]
	v_add_f64 v[59:60], v[27:28], -v[59:60]
	;; [unrolled: 1-line block ×8, first 2 shown]
	s_waitcnt lgkmcnt(0)
	v_add_f64 v[61:62], v[29:30], -v[61:62]
	v_add_f64 v[63:64], v[31:32], -v[63:64]
	v_fma_f64 v[1:2], v[1:2], 2.0, -v[33:34]
	v_fma_f64 v[3:4], v[3:4], 2.0, -v[35:36]
	;; [unrolled: 1-line block ×16, first 2 shown]
	v_add_f64 v[51:52], v[33:34], v[51:52]
	v_add_f64 v[49:50], v[35:36], -v[49:50]
	v_add_f64 v[59:60], v[41:42], v[59:60]
	v_add_f64 v[57:58], v[43:44], -v[57:58]
	;; [unrolled: 2-line block ×4, first 2 shown]
	v_add_f64 v[17:18], v[1:2], -v[17:18]
	v_add_f64 v[19:20], v[3:4], -v[19:20]
	v_fma_f64 v[33:34], v[33:34], 2.0, -v[51:52]
	v_fma_f64 v[35:36], v[35:36], 2.0, -v[49:50]
	v_add_f64 v[25:26], v[9:10], -v[25:26]
	v_add_f64 v[27:28], v[11:12], -v[27:28]
	v_fma_f64 v[41:42], v[41:42], 2.0, -v[59:60]
	v_fma_f64 v[43:44], v[43:44], 2.0, -v[57:58]
	;; [unrolled: 4-line block ×4, first 2 shown]
	v_fma_f64 v[73:74], v[59:60], s[6:7], v[51:52]
	v_fma_f64 v[75:76], v[57:58], s[6:7], v[49:50]
	;; [unrolled: 1-line block ×4, first 2 shown]
	v_fma_f64 v[1:2], v[1:2], 2.0, -v[17:18]
	v_fma_f64 v[3:4], v[3:4], 2.0, -v[19:20]
	;; [unrolled: 1-line block ×8, first 2 shown]
	v_fma_f64 v[81:82], v[41:42], s[4:5], v[33:34]
	v_fma_f64 v[83:84], v[43:44], s[4:5], v[35:36]
	v_add_f64 v[85:86], v[17:18], v[27:28]
	v_add_f64 v[87:88], v[19:20], -v[25:26]
	v_fma_f64 v[73:74], v[57:58], s[6:7], v[73:74]
	v_fma_f64 v[75:76], v[59:60], s[4:5], v[75:76]
	v_fma_f64 v[25:26], v[45:46], s[4:5], v[37:38]
	v_fma_f64 v[27:28], v[47:48], s[4:5], v[39:40]
	v_add_f64 v[31:32], v[21:22], v[31:32]
	v_add_f64 v[29:30], v[23:24], -v[29:30]
	v_fma_f64 v[59:60], v[61:62], s[6:7], v[77:78]
	v_fma_f64 v[57:58], v[63:64], s[4:5], v[79:80]
	v_add_f64 v[77:78], v[1:2], -v[9:10]
	v_add_f64 v[79:80], v[3:4], -v[11:12]
	v_fma_f64 v[81:82], v[43:44], s[6:7], v[81:82]
	v_fma_f64 v[83:84], v[41:42], s[4:5], v[83:84]
	v_fma_f64 v[41:42], v[51:52], 2.0, -v[73:74]
	v_fma_f64 v[43:44], v[49:50], 2.0, -v[75:76]
	v_add_f64 v[49:50], v[5:6], -v[13:14]
	v_add_f64 v[51:52], v[7:8], -v[15:16]
	v_fma_f64 v[25:26], v[47:48], s[6:7], v[25:26]
	v_fma_f64 v[27:28], v[45:46], s[4:5], v[27:28]
	v_fma_f64 v[17:18], v[17:18], 2.0, -v[85:86]
	v_fma_f64 v[19:20], v[19:20], 2.0, -v[87:88]
	;; [unrolled: 1-line block ×14, first 2 shown]
	v_add_f64 v[9:10], v[1:2], -v[5:6]
	v_add_f64 v[11:12], v[3:4], -v[7:8]
	v_fma_f64 v[5:6], v[15:16], s[8:9], v[45:46]
	v_fma_f64 v[7:8], v[13:14], s[8:9], v[47:48]
	;; [unrolled: 1-line block ×16, first 2 shown]
	v_fma_f64 v[5:6], v[45:46], 2.0, -v[13:14]
	v_fma_f64 v[7:8], v[47:48], 2.0, -v[15:16]
	;; [unrolled: 1-line block ×6, first 2 shown]
	v_fma_f64 v[41:42], v[25:26], s[14:15], v[81:82]
	v_fma_f64 v[43:44], v[27:28], s[14:15], v[83:84]
	v_add_f64 v[37:38], v[77:78], v[51:52]
	v_add_f64 v[39:40], v[79:80], -v[49:50]
	v_fma_f64 v[61:62], v[29:30], s[6:7], v[53:54]
	v_fma_f64 v[63:64], v[31:32], s[4:5], v[55:56]
	;; [unrolled: 1-line block ×6, first 2 shown]
	v_fma_f64 v[1:2], v[1:2], 2.0, -v[9:10]
	v_fma_f64 v[3:4], v[3:4], 2.0, -v[11:12]
	;; [unrolled: 1-line block ×10, first 2 shown]
	s_movk_i32 s4, 0x60
	v_cmp_gt_u32_e32 vcc, s4, v69
	s_barrier
	s_and_saveexec_b64 s[4:5], vcc
	s_cbranch_execz .LBB0_21
; %bb.20:
	s_movk_i32 s6, 0xf0
	v_mad_u32_u24 v70, v69, s6, v71
	ds_write_b128 v70, v[1:4]
	ds_write_b128 v70, v[5:8] offset:16
	ds_write_b128 v70, v[45:48] offset:32
	;; [unrolled: 1-line block ×15, first 2 shown]
.LBB0_21:
	s_or_b64 exec, exec, s[4:5]
	v_lshl_add_u32 v70, v0, 4, 0
	s_waitcnt lgkmcnt(0)
	s_barrier
	s_and_saveexec_b64 s[4:5], vcc
	s_cbranch_execz .LBB0_23
; %bb.22:
	ds_read_b128 v[1:4], v71
	ds_read_b128 v[5:8], v71 offset:1536
	ds_read_b128 v[45:48], v71 offset:3072
	;; [unrolled: 1-line block ×15, first 2 shown]
.LBB0_23:
	s_or_b64 exec, exec, s[4:5]
	s_waitcnt lgkmcnt(0)
	s_barrier
	s_and_saveexec_b64 s[4:5], vcc
	s_cbranch_execz .LBB0_25
; %bb.24:
	v_and_b32_e32 v73, 15, v0
	v_mul_u32_u24_e32 v0, 15, v73
	v_lshlrev_b32_e32 v0, 4, v0
	global_load_dwordx4 v[74:77], v0, s[12:13] offset:16
	s_mov_b32 s6, 0x667f3bcd
	s_mov_b32 s7, 0x3fe6a09e
	;; [unrolled: 1-line block ×12, first 2 shown]
	s_waitcnt vmcnt(0)
	v_mul_f64 v[78:79], v[45:46], v[76:77]
	v_fma_f64 v[78:79], v[47:48], v[74:75], -v[78:79]
	v_mul_f64 v[47:48], v[47:48], v[76:77]
	v_fma_f64 v[45:46], v[45:46], v[74:75], v[47:48]
	global_load_dwordx4 v[74:77], v0, s[12:13] offset:144
	s_waitcnt vmcnt(0)
	v_mul_f64 v[47:48], v[33:34], v[76:77]
	v_fma_f64 v[47:48], v[35:36], v[74:75], -v[47:48]
	v_mul_f64 v[35:36], v[35:36], v[76:77]
	v_fma_f64 v[74:75], v[33:34], v[74:75], v[35:36]
	global_load_dwordx4 v[33:36], v0, s[12:13] offset:80
	s_waitcnt vmcnt(0)
	v_mul_f64 v[76:77], v[55:56], v[35:36]
	v_mul_f64 v[35:36], v[53:54], v[35:36]
	v_fma_f64 v[76:77], v[53:54], v[33:34], v[76:77]
	v_fma_f64 v[53:54], v[55:56], v[33:34], -v[35:36]
	global_load_dwordx4 v[33:36], v0, s[12:13] offset:208
	s_waitcnt vmcnt(0)
	v_mul_f64 v[55:56], v[63:64], v[35:36]
	v_mul_f64 v[35:36], v[61:62], v[35:36]
	v_fma_f64 v[55:56], v[61:62], v[33:34], v[55:56]
	v_fma_f64 v[61:62], v[63:64], v[33:34], -v[35:36]
	global_load_dwordx4 v[33:36], v0, s[12:13] offset:32
	s_waitcnt vmcnt(0)
	v_mul_f64 v[63:64], v[17:18], v[35:36]
	v_fma_f64 v[63:64], v[19:20], v[33:34], -v[63:64]
	v_mul_f64 v[19:20], v[19:20], v[35:36]
	v_fma_f64 v[33:34], v[17:18], v[33:34], v[19:20]
	global_load_dwordx4 v[17:20], v0, s[12:13] offset:160
	s_waitcnt vmcnt(0)
	v_mul_f64 v[35:36], v[21:22], v[19:20]
	v_mul_f64 v[19:20], v[23:24], v[19:20]
	v_fma_f64 v[35:36], v[23:24], v[17:18], -v[35:36]
	v_fma_f64 v[21:22], v[21:22], v[17:18], v[19:20]
	global_load_dwordx4 v[17:20], v0, s[12:13] offset:96
	v_add_f64 v[35:36], v[63:64], -v[35:36]
	v_add_f64 v[21:22], v[33:34], -v[21:22]
	v_fma_f64 v[63:64], v[63:64], 2.0, -v[35:36]
	v_fma_f64 v[33:34], v[33:34], 2.0, -v[21:22]
	s_waitcnt vmcnt(0)
	v_mul_f64 v[23:24], v[51:52], v[19:20]
	v_mul_f64 v[19:20], v[49:50], v[19:20]
	v_fma_f64 v[23:24], v[49:50], v[17:18], v[23:24]
	v_fma_f64 v[49:50], v[51:52], v[17:18], -v[19:20]
	global_load_dwordx4 v[17:20], v0, s[12:13] offset:224
	s_waitcnt vmcnt(0)
	v_mul_f64 v[51:52], v[59:60], v[19:20]
	v_mul_f64 v[19:20], v[57:58], v[19:20]
	v_fma_f64 v[51:52], v[57:58], v[17:18], v[51:52]
	v_fma_f64 v[57:58], v[59:60], v[17:18], -v[19:20]
	global_load_dwordx4 v[17:20], v0, s[12:13]
	v_add_f64 v[51:52], v[23:24], -v[51:52]
	v_fma_f64 v[23:24], v[23:24], 2.0, -v[51:52]
	v_add_f64 v[23:24], v[33:34], -v[23:24]
	v_fma_f64 v[33:34], v[33:34], 2.0, -v[23:24]
	s_waitcnt vmcnt(0)
	v_mul_f64 v[59:60], v[5:6], v[19:20]
	v_fma_f64 v[59:60], v[7:8], v[17:18], -v[59:60]
	v_mul_f64 v[7:8], v[7:8], v[19:20]
	v_fma_f64 v[17:18], v[5:6], v[17:18], v[7:8]
	global_load_dwordx4 v[5:8], v0, s[12:13] offset:128
	s_waitcnt vmcnt(0)
	v_mul_f64 v[19:20], v[13:14], v[7:8]
	v_mul_f64 v[7:8], v[15:16], v[7:8]
	v_fma_f64 v[19:20], v[15:16], v[5:6], -v[19:20]
	v_fma_f64 v[13:14], v[13:14], v[5:6], v[7:8]
	global_load_dwordx4 v[5:8], v0, s[12:13] offset:64
	v_add_f64 v[19:20], v[59:60], -v[19:20]
	v_add_f64 v[13:14], v[17:18], -v[13:14]
	s_waitcnt vmcnt(0)
	v_mul_f64 v[15:16], v[31:32], v[7:8]
	v_mul_f64 v[7:8], v[29:30], v[7:8]
	v_fma_f64 v[15:16], v[29:30], v[5:6], v[15:16]
	v_fma_f64 v[29:30], v[31:32], v[5:6], -v[7:8]
	global_load_dwordx4 v[5:8], v0, s[12:13] offset:192
	s_waitcnt vmcnt(0)
	v_mul_f64 v[31:32], v[43:44], v[7:8]
	v_mul_f64 v[7:8], v[41:42], v[7:8]
	v_fma_f64 v[31:32], v[41:42], v[5:6], v[31:32]
	v_fma_f64 v[41:42], v[43:44], v[5:6], -v[7:8]
	global_load_dwordx4 v[5:8], v0, s[12:13] offset:48
	v_add_f64 v[31:32], v[15:16], -v[31:32]
	v_add_f64 v[41:42], v[29:30], -v[41:42]
	v_fma_f64 v[15:16], v[15:16], 2.0, -v[31:32]
	v_fma_f64 v[29:30], v[29:30], 2.0, -v[41:42]
	v_add_f64 v[31:32], v[19:20], -v[31:32]
	s_waitcnt vmcnt(0)
	v_mul_f64 v[43:44], v[27:28], v[7:8]
	v_mul_f64 v[7:8], v[25:26], v[7:8]
	v_fma_f64 v[43:44], v[25:26], v[5:6], v[43:44]
	v_fma_f64 v[25:26], v[27:28], v[5:6], -v[7:8]
	global_load_dwordx4 v[5:8], v0, s[12:13] offset:176
	s_waitcnt vmcnt(0)
	v_mul_f64 v[27:28], v[39:40], v[7:8]
	v_mul_f64 v[7:8], v[37:38], v[7:8]
	v_fma_f64 v[27:28], v[37:38], v[5:6], v[27:28]
	v_fma_f64 v[37:38], v[39:40], v[5:6], -v[7:8]
	global_load_dwordx4 v[5:8], v0, s[12:13] offset:112
	v_add_f64 v[27:28], v[43:44], -v[27:28]
	v_add_f64 v[37:38], v[25:26], -v[37:38]
	v_fma_f64 v[25:26], v[25:26], 2.0, -v[37:38]
	s_waitcnt vmcnt(0)
	v_mul_f64 v[39:40], v[9:10], v[7:8]
	v_mul_f64 v[7:8], v[11:12], v[7:8]
	v_fma_f64 v[39:40], v[11:12], v[5:6], -v[39:40]
	v_fma_f64 v[5:6], v[9:10], v[5:6], v[7:8]
	v_add_f64 v[7:8], v[78:79], -v[47:48]
	v_add_f64 v[9:10], v[76:77], -v[55:56]
	;; [unrolled: 1-line block ×8, first 2 shown]
	v_fma_f64 v[76:77], v[76:77], 2.0, -v[9:10]
	v_add_f64 v[9:10], v[21:22], v[55:56]
	v_fma_f64 v[49:50], v[49:50], 2.0, -v[55:56]
	v_fma_f64 v[78:79], v[78:79], 2.0, -v[7:8]
	v_add_f64 v[74:75], v[11:12], -v[27:28]
	v_add_f64 v[80:81], v[39:40], v[47:48]
	v_add_f64 v[5:6], v[57:58], v[37:38]
	;; [unrolled: 1-line block ×3, first 2 shown]
	v_add_f64 v[41:42], v[35:36], -v[51:52]
	v_fma_f64 v[47:48], v[53:54], 2.0, -v[47:48]
	v_fma_f64 v[53:54], v[1:2], 2.0, -v[57:58]
	;; [unrolled: 1-line block ×3, first 2 shown]
	v_fma_f64 v[7:8], v[61:62], s[6:7], v[74:75]
	v_fma_f64 v[27:28], v[43:44], 2.0, -v[27:28]
	v_fma_f64 v[51:52], v[80:81], s[6:7], v[5:6]
	v_fma_f64 v[55:56], v[9:10], s[6:7], v[37:38]
	v_fma_f64 v[35:36], v[35:36], 2.0, -v[41:42]
	v_fma_f64 v[21:22], v[21:22], 2.0, -v[9:10]
	;; [unrolled: 1-line block ×4, first 2 shown]
	v_add_f64 v[49:50], v[63:64], -v[49:50]
	v_add_f64 v[47:48], v[78:79], -v[47:48]
	v_fma_f64 v[0:1], v[61:62], s[6:7], v[51:52]
	v_fma_f64 v[51:52], v[41:42], s[6:7], v[55:56]
	;; [unrolled: 1-line block ×4, first 2 shown]
	v_fma_f64 v[61:62], v[13:14], 2.0, -v[37:38]
	v_add_f64 v[25:26], v[3:4], -v[25:26]
	v_add_f64 v[27:28], v[53:54], -v[27:28]
	v_fma_f64 v[43:44], v[51:52], s[8:9], v[0:1]
	v_fma_f64 v[41:42], v[9:10], s[14:15], v[41:42]
	v_fma_f64 v[2:3], v[3:4], 2.0, -v[25:26]
	v_add_f64 v[92:93], v[27:28], v[47:48]
	v_fma_f64 v[47:48], v[78:79], 2.0, -v[47:48]
	v_fma_f64 v[7:8], v[41:42], s[8:9], v[55:56]
	v_add_f64 v[47:48], v[2:3], -v[47:48]
	v_fma_f64 v[9:10], v[51:52], s[16:17], v[7:8]
	v_fma_f64 v[7:8], v[41:42], s[18:19], v[43:44]
	v_fma_f64 v[43:44], v[59:60], 2.0, -v[19:20]
	v_fma_f64 v[19:20], v[19:20], 2.0, -v[31:32]
	v_fma_f64 v[59:60], v[17:18], 2.0, -v[13:14]
	v_fma_f64 v[17:18], v[39:40], 2.0, -v[80:81]
	v_fma_f64 v[13:14], v[21:22], s[14:15], v[61:62]
	v_fma_f64 v[80:81], v[11:12], 2.0, -v[74:75]
	v_fma_f64 v[51:52], v[37:38], 2.0, -v[51:52]
	v_add_f64 v[29:30], v[43:44], -v[29:30]
	v_fma_f64 v[39:40], v[35:36], s[14:15], v[19:20]
	v_add_f64 v[84:85], v[59:60], -v[15:16]
	v_fma_f64 v[11:12], v[82:83], s[14:15], v[80:81]
	;; [unrolled: 2-line block ×3, first 2 shown]
	v_fma_f64 v[21:22], v[35:36], s[6:7], v[13:14]
	v_fma_f64 v[35:36], v[57:58], 2.0, -v[5:6]
	v_add_f64 v[57:58], v[45:46], -v[76:77]
	v_fma_f64 v[76:77], v[17:18], s[14:15], v[11:12]
	v_add_f64 v[90:91], v[84:85], v[49:50]
	v_fma_f64 v[37:38], v[59:60], 2.0, -v[84:85]
	v_fma_f64 v[49:50], v[63:64], 2.0, -v[49:50]
	;; [unrolled: 1-line block ×4, first 2 shown]
	v_fma_f64 v[11:12], v[17:18], s[14:15], v[35:36]
	v_add_f64 v[86:87], v[25:26], -v[57:58]
	v_fma_f64 v[45:46], v[45:46], 2.0, -v[57:58]
	v_fma_f64 v[15:16], v[90:91], s[6:7], v[92:93]
	v_fma_f64 v[57:58], v[31:32], 2.0, -v[41:42]
	v_fma_f64 v[31:32], v[19:20], 2.0, -v[39:40]
	;; [unrolled: 1-line block ×4, first 2 shown]
	v_fma_f64 v[82:83], v[82:83], s[6:7], v[11:12]
	v_fma_f64 v[11:12], v[88:89], s[6:7], v[86:87]
	v_fma_f64 v[43:44], v[61:62], 2.0, -v[21:22]
	v_fma_f64 v[74:75], v[25:26], 2.0, -v[86:87]
	;; [unrolled: 1-line block ×3, first 2 shown]
	v_fma_f64 v[61:62], v[31:32], s[20:21], v[59:60]
	v_add_f64 v[49:50], v[41:42], -v[49:50]
	v_fma_f64 v[94:95], v[21:22], s[18:19], v[82:83]
	v_fma_f64 v[13:14], v[90:91], s[14:15], v[11:12]
	;; [unrolled: 1-line block ×4, first 2 shown]
	v_fma_f64 v[78:79], v[35:36], 2.0, -v[82:83]
	v_fma_f64 v[35:36], v[29:30], 2.0, -v[88:89]
	;; [unrolled: 1-line block ×6, first 2 shown]
	v_fma_f64 v[17:18], v[21:22], s[20:21], v[15:16]
	v_fma_f64 v[15:16], v[39:40], s[8:9], v[94:95]
	v_fma_f64 v[39:40], v[53:54], 2.0, -v[27:28]
	v_fma_f64 v[53:54], v[84:85], 2.0, -v[90:91]
	v_fma_f64 v[84:85], v[57:58], s[16:17], v[63:64]
	v_add_f64 v[41:42], v[55:56], -v[41:42]
	v_fma_f64 v[27:28], v[0:1], 2.0, -v[7:8]
	v_fma_f64 v[21:22], v[86:87], 2.0, -v[13:14]
	;; [unrolled: 1-line block ×4, first 2 shown]
	v_fma_f64 v[76:77], v[43:44], s[20:21], v[78:79]
	v_add_f64 v[82:83], v[39:40], -v[45:46]
	v_add_f64 v[45:46], v[37:38], -v[33:34]
	v_fma_f64 v[33:34], v[43:44], s[16:17], v[61:62]
	v_fma_f64 v[43:44], v[35:36], s[14:15], v[74:75]
	;; [unrolled: 1-line block ×4, first 2 shown]
	v_fma_f64 v[76:77], v[39:40], 2.0, -v[82:83]
	v_fma_f64 v[39:40], v[37:38], 2.0, -v[45:46]
	v_add_f64 v[37:38], v[47:48], -v[45:46]
	v_fma_f64 v[2:3], v[53:54], s[14:15], v[43:44]
	v_fma_f64 v[43:44], v[51:52], s[16:17], v[4:5]
	;; [unrolled: 1-line block ×4, first 2 shown]
	v_add_f64 v[35:36], v[82:83], v[49:50]
	v_fma_f64 v[61:62], v[59:60], 2.0, -v[33:34]
	v_add_f64 v[39:40], v[76:77], -v[39:40]
	v_fma_f64 v[59:60], v[78:79], 2.0, -v[31:32]
	v_fma_f64 v[49:50], v[47:48], 2.0, -v[37:38]
	v_fma_f64 v[43:44], v[57:58], s[8:9], v[43:44]
	v_fma_f64 v[57:58], v[55:56], 2.0, -v[41:42]
	v_fma_f64 v[53:54], v[63:64], 2.0, -v[45:46]
	;; [unrolled: 1-line block ×3, first 2 shown]
	s_movk_i32 s6, 0x700
	v_fma_f64 v[55:56], v[76:77], 2.0, -v[39:40]
	v_fma_f64 v[76:77], v[74:75], 2.0, -v[2:3]
	;; [unrolled: 1-line block ×4, first 2 shown]
	v_and_or_b32 v4, v72, s6, v73
	v_lshl_add_u32 v4, v4, 4, 0
	ds_write_b128 v4, v[55:58]
	ds_write_b128 v4, v[59:62] offset:256
	ds_write_b128 v4, v[74:77] offset:512
	;; [unrolled: 1-line block ×15, first 2 shown]
.LBB0_25:
	s_or_b64 exec, exec, s[4:5]
	v_mul_u32_u24_e32 v0, 5, v69
	v_lshlrev_b32_e32 v20, 4, v0
	s_waitcnt lgkmcnt(0)
	s_barrier
	global_load_dwordx4 v[0:3], v20, s[12:13] offset:3840
	global_load_dwordx4 v[4:7], v20, s[12:13] offset:3856
	;; [unrolled: 1-line block ×5, first 2 shown]
	ds_read_b128 v[20:23], v71
	ds_read_b128 v[24:27], v71 offset:4096
	ds_read_b128 v[28:31], v71 offset:8192
	;; [unrolled: 1-line block ×5, first 2 shown]
	s_mov_b32 s4, 0xe8584caa
	s_mov_b32 s5, 0xbfebb67a
	s_mov_b32 s7, 0x3febb67a
	s_mov_b32 s6, s4
	s_waitcnt vmcnt(0) lgkmcnt(0)
	s_barrier
	v_mul_f64 v[44:45], v[26:27], v[2:3]
	v_mul_f64 v[2:3], v[24:25], v[2:3]
	;; [unrolled: 1-line block ×10, first 2 shown]
	v_fma_f64 v[34:35], v[34:35], v[8:9], -v[48:49]
	v_fma_f64 v[42:43], v[42:43], v[12:13], -v[50:51]
	v_fma_f64 v[28:29], v[28:29], v[4:5], v[46:47]
	v_fma_f64 v[4:5], v[30:31], v[4:5], -v[6:7]
	v_fma_f64 v[6:7], v[36:37], v[16:17], v[52:53]
	;; [unrolled: 2-line block ×3, first 2 shown]
	v_fma_f64 v[8:9], v[32:33], v[8:9], v[10:11]
	v_fma_f64 v[10:11], v[40:41], v[12:13], v[14:15]
	v_fma_f64 v[0:1], v[26:27], v[0:1], -v[2:3]
	v_add_f64 v[2:3], v[34:35], v[42:43]
	v_add_f64 v[12:13], v[20:21], v[28:29]
	;; [unrolled: 1-line block ×3, first 2 shown]
	v_add_f64 v[24:25], v[4:5], -v[16:17]
	v_add_f64 v[26:27], v[22:23], v[4:5]
	v_add_f64 v[4:5], v[4:5], v[16:17]
	;; [unrolled: 1-line block ×3, first 2 shown]
	v_add_f64 v[32:33], v[8:9], -v[10:11]
	v_fma_f64 v[2:3], v[2:3], -0.5, v[0:1]
	v_add_f64 v[28:29], v[28:29], -v[6:7]
	v_add_f64 v[8:9], v[18:19], v[8:9]
	v_add_f64 v[36:37], v[34:35], -v[42:43]
	v_add_f64 v[0:1], v[0:1], v[34:35]
	v_add_f64 v[6:7], v[12:13], v[6:7]
	v_fma_f64 v[12:13], v[30:31], -0.5, v[18:19]
	v_fma_f64 v[14:15], v[14:15], -0.5, v[20:21]
	v_fma_f64 v[18:19], v[32:33], s[6:7], v[2:3]
	v_fma_f64 v[2:3], v[32:33], s[4:5], v[2:3]
	v_fma_f64 v[4:5], v[4:5], -0.5, v[22:23]
	v_add_f64 v[8:9], v[8:9], v[10:11]
	v_add_f64 v[10:11], v[0:1], v[42:43]
	;; [unrolled: 1-line block ×3, first 2 shown]
	v_fma_f64 v[0:1], v[36:37], s[4:5], v[12:13]
	v_fma_f64 v[12:13], v[36:37], s[6:7], v[12:13]
	v_mul_f64 v[20:21], v[18:19], s[4:5]
	v_mul_f64 v[18:19], v[18:19], 0.5
	v_mul_f64 v[22:23], v[2:3], s[4:5]
	v_mul_f64 v[2:3], v[2:3], -0.5
	v_fma_f64 v[26:27], v[24:25], s[4:5], v[14:15]
	v_fma_f64 v[30:31], v[28:29], s[6:7], v[4:5]
	;; [unrolled: 1-line block ×4, first 2 shown]
	v_fma_f64 v[20:21], v[0:1], 0.5, v[20:21]
	v_fma_f64 v[18:19], v[0:1], s[6:7], v[18:19]
	v_fma_f64 v[22:23], v[12:13], -0.5, v[22:23]
	v_fma_f64 v[32:33], v[12:13], s[6:7], v[2:3]
	v_add_f64 v[0:1], v[6:7], v[8:9]
	v_add_f64 v[2:3], v[16:17], v[10:11]
	v_add_f64 v[4:5], v[6:7], -v[8:9]
	v_add_f64 v[6:7], v[16:17], -v[10:11]
	v_add_f64 v[8:9], v[26:27], v[20:21]
	v_add_f64 v[10:11], v[30:31], v[18:19]
	;; [unrolled: 1-line block ×4, first 2 shown]
	v_add_f64 v[16:17], v[26:27], -v[20:21]
	v_add_f64 v[18:19], v[30:31], -v[18:19]
	;; [unrolled: 1-line block ×4, first 2 shown]
	ds_write_b128 v71, v[0:3]
	ds_write_b128 v71, v[8:11] offset:4096
	ds_write_b128 v71, v[12:15] offset:8192
	ds_write_b128 v70, v[4:7] offset:12288
	ds_write_b128 v71, v[16:19] offset:16384
	ds_write_b128 v71, v[20:23] offset:20480
	s_waitcnt lgkmcnt(0)
	s_barrier
	s_and_saveexec_b64 s[4:5], s[0:1]
	s_cbranch_execz .LBB0_27
; %bb.26:
	v_mul_lo_u32 v0, s3, v67
	v_mul_lo_u32 v1, s2, v68
	v_mad_u64_u32 v[4:5], s[0:1], s2, v67, 0
	v_mov_b32_e32 v6, s11
	v_lshl_add_u32 v10, v69, 4, 0
	v_add3_u32 v5, v5, v1, v0
	v_lshlrev_b64 v[4:5], 4, v[4:5]
	v_mov_b32_e32 v70, 0
	v_add_co_u32_e32 v7, vcc, s10, v4
	v_addc_co_u32_e32 v6, vcc, v6, v5, vcc
	v_lshlrev_b64 v[4:5], 4, v[65:66]
	ds_read_b128 v[0:3], v10
	v_add_co_u32_e32 v11, vcc, v7, v4
	v_addc_co_u32_e32 v12, vcc, v6, v5, vcc
	v_lshlrev_b64 v[4:5], 4, v[69:70]
	v_add_co_u32_e32 v8, vcc, v11, v4
	v_addc_co_u32_e32 v9, vcc, v12, v5, vcc
	ds_read_b128 v[4:7], v10 offset:4096
	s_waitcnt lgkmcnt(1)
	global_store_dwordx4 v[8:9], v[0:3], off
	s_nop 0
	v_add_u32_e32 v0, 0x100, v69
	v_mov_b32_e32 v1, v70
	v_lshlrev_b64 v[0:1], 4, v[0:1]
	v_add_co_u32_e32 v0, vcc, v11, v0
	v_addc_co_u32_e32 v1, vcc, v12, v1, vcc
	s_waitcnt lgkmcnt(0)
	global_store_dwordx4 v[0:1], v[4:7], off
	ds_read_b128 v[0:3], v10 offset:8192
	v_add_u32_e32 v4, 0x200, v69
	v_mov_b32_e32 v5, v70
	v_lshlrev_b64 v[4:5], 4, v[4:5]
	v_add_co_u32_e32 v8, vcc, v11, v4
	v_addc_co_u32_e32 v9, vcc, v12, v5, vcc
	ds_read_b128 v[4:7], v10 offset:12288
	s_waitcnt lgkmcnt(1)
	global_store_dwordx4 v[8:9], v[0:3], off
	s_nop 0
	v_add_u32_e32 v0, 0x300, v69
	v_mov_b32_e32 v1, v70
	v_lshlrev_b64 v[0:1], 4, v[0:1]
	v_add_co_u32_e32 v0, vcc, v11, v0
	v_addc_co_u32_e32 v1, vcc, v12, v1, vcc
	s_waitcnt lgkmcnt(0)
	global_store_dwordx4 v[0:1], v[4:7], off
	ds_read_b128 v[0:3], v10 offset:16384
	v_add_u32_e32 v4, 0x400, v69
	v_mov_b32_e32 v5, v70
	v_lshlrev_b64 v[4:5], 4, v[4:5]
	v_add_u32_e32 v69, 0x500, v69
	v_add_co_u32_e32 v8, vcc, v11, v4
	v_addc_co_u32_e32 v9, vcc, v12, v5, vcc
	ds_read_b128 v[4:7], v10 offset:20480
	s_waitcnt lgkmcnt(1)
	global_store_dwordx4 v[8:9], v[0:3], off
	s_nop 0
	v_lshlrev_b64 v[0:1], 4, v[69:70]
	v_add_co_u32_e32 v0, vcc, v11, v0
	v_addc_co_u32_e32 v1, vcc, v12, v1, vcc
	s_waitcnt lgkmcnt(0)
	global_store_dwordx4 v[0:1], v[4:7], off
.LBB0_27:
	s_endpgm
	.section	.rodata,"a",@progbits
	.p2align	6, 0x0
	.amdhsa_kernel fft_rtc_back_len1536_factors_16_16_6_wgs_256_tpt_256_halfLds_dp_op_CI_CI_unitstride_sbrr_C2R_dirReg
		.amdhsa_group_segment_fixed_size 0
		.amdhsa_private_segment_fixed_size 0
		.amdhsa_kernarg_size 104
		.amdhsa_user_sgpr_count 6
		.amdhsa_user_sgpr_private_segment_buffer 1
		.amdhsa_user_sgpr_dispatch_ptr 0
		.amdhsa_user_sgpr_queue_ptr 0
		.amdhsa_user_sgpr_kernarg_segment_ptr 1
		.amdhsa_user_sgpr_dispatch_id 0
		.amdhsa_user_sgpr_flat_scratch_init 0
		.amdhsa_user_sgpr_private_segment_size 0
		.amdhsa_uses_dynamic_stack 0
		.amdhsa_system_sgpr_private_segment_wavefront_offset 0
		.amdhsa_system_sgpr_workgroup_id_x 1
		.amdhsa_system_sgpr_workgroup_id_y 0
		.amdhsa_system_sgpr_workgroup_id_z 0
		.amdhsa_system_sgpr_workgroup_info 0
		.amdhsa_system_vgpr_workitem_id 0
		.amdhsa_next_free_vgpr 96
		.amdhsa_next_free_sgpr 28
		.amdhsa_reserve_vcc 1
		.amdhsa_reserve_flat_scratch 0
		.amdhsa_float_round_mode_32 0
		.amdhsa_float_round_mode_16_64 0
		.amdhsa_float_denorm_mode_32 3
		.amdhsa_float_denorm_mode_16_64 3
		.amdhsa_dx10_clamp 1
		.amdhsa_ieee_mode 1
		.amdhsa_fp16_overflow 0
		.amdhsa_exception_fp_ieee_invalid_op 0
		.amdhsa_exception_fp_denorm_src 0
		.amdhsa_exception_fp_ieee_div_zero 0
		.amdhsa_exception_fp_ieee_overflow 0
		.amdhsa_exception_fp_ieee_underflow 0
		.amdhsa_exception_fp_ieee_inexact 0
		.amdhsa_exception_int_div_zero 0
	.end_amdhsa_kernel
	.text
.Lfunc_end0:
	.size	fft_rtc_back_len1536_factors_16_16_6_wgs_256_tpt_256_halfLds_dp_op_CI_CI_unitstride_sbrr_C2R_dirReg, .Lfunc_end0-fft_rtc_back_len1536_factors_16_16_6_wgs_256_tpt_256_halfLds_dp_op_CI_CI_unitstride_sbrr_C2R_dirReg
                                        ; -- End function
	.section	.AMDGPU.csdata,"",@progbits
; Kernel info:
; codeLenInByte = 7140
; NumSgprs: 32
; NumVgprs: 96
; ScratchSize: 0
; MemoryBound: 0
; FloatMode: 240
; IeeeMode: 1
; LDSByteSize: 0 bytes/workgroup (compile time only)
; SGPRBlocks: 3
; VGPRBlocks: 23
; NumSGPRsForWavesPerEU: 32
; NumVGPRsForWavesPerEU: 96
; Occupancy: 2
; WaveLimiterHint : 1
; COMPUTE_PGM_RSRC2:SCRATCH_EN: 0
; COMPUTE_PGM_RSRC2:USER_SGPR: 6
; COMPUTE_PGM_RSRC2:TRAP_HANDLER: 0
; COMPUTE_PGM_RSRC2:TGID_X_EN: 1
; COMPUTE_PGM_RSRC2:TGID_Y_EN: 0
; COMPUTE_PGM_RSRC2:TGID_Z_EN: 0
; COMPUTE_PGM_RSRC2:TIDIG_COMP_CNT: 0
	.type	__hip_cuid_ab042c47e34c532a,@object ; @__hip_cuid_ab042c47e34c532a
	.section	.bss,"aw",@nobits
	.globl	__hip_cuid_ab042c47e34c532a
__hip_cuid_ab042c47e34c532a:
	.byte	0                               ; 0x0
	.size	__hip_cuid_ab042c47e34c532a, 1

	.ident	"AMD clang version 19.0.0git (https://github.com/RadeonOpenCompute/llvm-project roc-6.4.0 25133 c7fe45cf4b819c5991fe208aaa96edf142730f1d)"
	.section	".note.GNU-stack","",@progbits
	.addrsig
	.addrsig_sym __hip_cuid_ab042c47e34c532a
	.amdgpu_metadata
---
amdhsa.kernels:
  - .args:
      - .actual_access:  read_only
        .address_space:  global
        .offset:         0
        .size:           8
        .value_kind:     global_buffer
      - .offset:         8
        .size:           8
        .value_kind:     by_value
      - .actual_access:  read_only
        .address_space:  global
        .offset:         16
        .size:           8
        .value_kind:     global_buffer
      - .actual_access:  read_only
        .address_space:  global
        .offset:         24
        .size:           8
        .value_kind:     global_buffer
      - .actual_access:  read_only
        .address_space:  global
        .offset:         32
        .size:           8
        .value_kind:     global_buffer
      - .offset:         40
        .size:           8
        .value_kind:     by_value
      - .actual_access:  read_only
        .address_space:  global
        .offset:         48
        .size:           8
        .value_kind:     global_buffer
      - .actual_access:  read_only
        .address_space:  global
        .offset:         56
        .size:           8
        .value_kind:     global_buffer
      - .offset:         64
        .size:           4
        .value_kind:     by_value
      - .actual_access:  read_only
        .address_space:  global
        .offset:         72
        .size:           8
        .value_kind:     global_buffer
      - .actual_access:  read_only
        .address_space:  global
        .offset:         80
        .size:           8
        .value_kind:     global_buffer
      - .actual_access:  read_only
        .address_space:  global
        .offset:         88
        .size:           8
        .value_kind:     global_buffer
      - .actual_access:  write_only
        .address_space:  global
        .offset:         96
        .size:           8
        .value_kind:     global_buffer
    .group_segment_fixed_size: 0
    .kernarg_segment_align: 8
    .kernarg_segment_size: 104
    .language:       OpenCL C
    .language_version:
      - 2
      - 0
    .max_flat_workgroup_size: 256
    .name:           fft_rtc_back_len1536_factors_16_16_6_wgs_256_tpt_256_halfLds_dp_op_CI_CI_unitstride_sbrr_C2R_dirReg
    .private_segment_fixed_size: 0
    .sgpr_count:     32
    .sgpr_spill_count: 0
    .symbol:         fft_rtc_back_len1536_factors_16_16_6_wgs_256_tpt_256_halfLds_dp_op_CI_CI_unitstride_sbrr_C2R_dirReg.kd
    .uniform_work_group_size: 1
    .uses_dynamic_stack: false
    .vgpr_count:     96
    .vgpr_spill_count: 0
    .wavefront_size: 64
amdhsa.target:   amdgcn-amd-amdhsa--gfx906
amdhsa.version:
  - 1
  - 2
...

	.end_amdgpu_metadata
